;; amdgpu-corpus repo=ROCm/rocFFT kind=compiled arch=gfx1030 opt=O3
	.text
	.amdgcn_target "amdgcn-amd-amdhsa--gfx1030"
	.amdhsa_code_object_version 6
	.protected	fft_rtc_back_len385_factors_11_7_5_wgs_55_tpt_55_sp_op_CI_CI_sbrr_dirReg ; -- Begin function fft_rtc_back_len385_factors_11_7_5_wgs_55_tpt_55_sp_op_CI_CI_sbrr_dirReg
	.globl	fft_rtc_back_len385_factors_11_7_5_wgs_55_tpt_55_sp_op_CI_CI_sbrr_dirReg
	.p2align	8
	.type	fft_rtc_back_len385_factors_11_7_5_wgs_55_tpt_55_sp_op_CI_CI_sbrr_dirReg,@function
fft_rtc_back_len385_factors_11_7_5_wgs_55_tpt_55_sp_op_CI_CI_sbrr_dirReg: ; @fft_rtc_back_len385_factors_11_7_5_wgs_55_tpt_55_sp_op_CI_CI_sbrr_dirReg
; %bb.0:
	s_clause 0x2
	s_load_dwordx4 s[16:19], s[4:5], 0x18
	s_load_dwordx4 s[12:15], s[4:5], 0x0
	;; [unrolled: 1-line block ×3, first 2 shown]
	v_mul_u32_u24_e32 v1, 0x4a8, v0
	v_mov_b32_e32 v3, 0
	s_waitcnt lgkmcnt(0)
	s_load_dwordx2 s[20:21], s[16:17], 0x0
	s_load_dwordx2 s[2:3], s[18:19], 0x0
	v_cmp_lt_u64_e64 s0, s[14:15], 2
	v_add_nc_u32_sdwa v5, s6, v1 dst_sel:DWORD dst_unused:UNUSED_PAD src0_sel:DWORD src1_sel:WORD_1
	v_mov_b32_e32 v1, 0
	v_mov_b32_e32 v6, v3
	;; [unrolled: 1-line block ×3, first 2 shown]
	s_and_b32 vcc_lo, exec_lo, s0
	s_cbranch_vccnz .LBB0_8
; %bb.1:
	s_load_dwordx2 s[0:1], s[4:5], 0x10
	v_mov_b32_e32 v1, 0
	v_mov_b32_e32 v2, 0
	s_add_u32 s6, s18, 8
	s_addc_u32 s7, s19, 0
	s_add_u32 s22, s16, 8
	s_addc_u32 s23, s17, 0
	v_mov_b32_e32 v21, v2
	v_mov_b32_e32 v20, v1
	s_mov_b64 s[26:27], 1
	s_waitcnt lgkmcnt(0)
	s_add_u32 s24, s0, 8
	s_addc_u32 s25, s1, 0
.LBB0_2:                                ; =>This Inner Loop Header: Depth=1
	s_load_dwordx2 s[28:29], s[24:25], 0x0
                                        ; implicit-def: $vgpr22_vgpr23
	s_mov_b32 s0, exec_lo
	s_waitcnt lgkmcnt(0)
	v_or_b32_e32 v4, s29, v6
	v_cmpx_ne_u64_e32 0, v[3:4]
	s_xor_b32 s1, exec_lo, s0
	s_cbranch_execz .LBB0_4
; %bb.3:                                ;   in Loop: Header=BB0_2 Depth=1
	v_cvt_f32_u32_e32 v4, s28
	v_cvt_f32_u32_e32 v7, s29
	s_sub_u32 s0, 0, s28
	s_subb_u32 s30, 0, s29
	v_fmac_f32_e32 v4, 0x4f800000, v7
	v_rcp_f32_e32 v4, v4
	v_mul_f32_e32 v4, 0x5f7ffffc, v4
	v_mul_f32_e32 v7, 0x2f800000, v4
	v_trunc_f32_e32 v7, v7
	v_fmac_f32_e32 v4, 0xcf800000, v7
	v_cvt_u32_f32_e32 v7, v7
	v_cvt_u32_f32_e32 v4, v4
	v_mul_lo_u32 v8, s0, v7
	v_mul_hi_u32 v9, s0, v4
	v_mul_lo_u32 v10, s30, v4
	v_add_nc_u32_e32 v8, v9, v8
	v_mul_lo_u32 v9, s0, v4
	v_add_nc_u32_e32 v8, v8, v10
	v_mul_hi_u32 v10, v4, v9
	v_mul_lo_u32 v11, v4, v8
	v_mul_hi_u32 v12, v4, v8
	v_mul_hi_u32 v13, v7, v9
	v_mul_lo_u32 v9, v7, v9
	v_mul_hi_u32 v14, v7, v8
	v_mul_lo_u32 v8, v7, v8
	v_add_co_u32 v10, vcc_lo, v10, v11
	v_add_co_ci_u32_e32 v11, vcc_lo, 0, v12, vcc_lo
	v_add_co_u32 v9, vcc_lo, v10, v9
	v_add_co_ci_u32_e32 v9, vcc_lo, v11, v13, vcc_lo
	v_add_co_ci_u32_e32 v10, vcc_lo, 0, v14, vcc_lo
	v_add_co_u32 v8, vcc_lo, v9, v8
	v_add_co_ci_u32_e32 v9, vcc_lo, 0, v10, vcc_lo
	v_add_co_u32 v4, vcc_lo, v4, v8
	v_add_co_ci_u32_e32 v7, vcc_lo, v7, v9, vcc_lo
	v_mul_hi_u32 v8, s0, v4
	v_mul_lo_u32 v10, s30, v4
	v_mul_lo_u32 v9, s0, v7
	v_add_nc_u32_e32 v8, v8, v9
	v_mul_lo_u32 v9, s0, v4
	v_add_nc_u32_e32 v8, v8, v10
	v_mul_hi_u32 v10, v4, v9
	v_mul_lo_u32 v11, v4, v8
	v_mul_hi_u32 v12, v4, v8
	v_mul_hi_u32 v13, v7, v9
	v_mul_lo_u32 v9, v7, v9
	v_mul_hi_u32 v14, v7, v8
	v_mul_lo_u32 v8, v7, v8
	v_add_co_u32 v10, vcc_lo, v10, v11
	v_add_co_ci_u32_e32 v11, vcc_lo, 0, v12, vcc_lo
	v_add_co_u32 v9, vcc_lo, v10, v9
	v_add_co_ci_u32_e32 v9, vcc_lo, v11, v13, vcc_lo
	v_add_co_ci_u32_e32 v10, vcc_lo, 0, v14, vcc_lo
	v_add_co_u32 v8, vcc_lo, v9, v8
	v_add_co_ci_u32_e32 v9, vcc_lo, 0, v10, vcc_lo
	v_add_co_u32 v4, vcc_lo, v4, v8
	v_add_co_ci_u32_e32 v11, vcc_lo, v7, v9, vcc_lo
	v_mul_hi_u32 v13, v5, v4
	v_mad_u64_u32 v[9:10], null, v6, v4, 0
	v_mad_u64_u32 v[7:8], null, v5, v11, 0
	v_mad_u64_u32 v[11:12], null, v6, v11, 0
	v_add_co_u32 v4, vcc_lo, v13, v7
	v_add_co_ci_u32_e32 v7, vcc_lo, 0, v8, vcc_lo
	v_add_co_u32 v4, vcc_lo, v4, v9
	v_add_co_ci_u32_e32 v4, vcc_lo, v7, v10, vcc_lo
	v_add_co_ci_u32_e32 v7, vcc_lo, 0, v12, vcc_lo
	v_add_co_u32 v4, vcc_lo, v4, v11
	v_add_co_ci_u32_e32 v9, vcc_lo, 0, v7, vcc_lo
	v_mul_lo_u32 v10, s29, v4
	v_mad_u64_u32 v[7:8], null, s28, v4, 0
	v_mul_lo_u32 v11, s28, v9
	v_sub_co_u32 v7, vcc_lo, v5, v7
	v_add3_u32 v8, v8, v11, v10
	v_sub_nc_u32_e32 v10, v6, v8
	v_subrev_co_ci_u32_e64 v10, s0, s29, v10, vcc_lo
	v_add_co_u32 v11, s0, v4, 2
	v_add_co_ci_u32_e64 v12, s0, 0, v9, s0
	v_sub_co_u32 v13, s0, v7, s28
	v_sub_co_ci_u32_e32 v8, vcc_lo, v6, v8, vcc_lo
	v_subrev_co_ci_u32_e64 v10, s0, 0, v10, s0
	v_cmp_le_u32_e32 vcc_lo, s28, v13
	v_cmp_eq_u32_e64 s0, s29, v8
	v_cndmask_b32_e64 v13, 0, -1, vcc_lo
	v_cmp_le_u32_e32 vcc_lo, s29, v10
	v_cndmask_b32_e64 v14, 0, -1, vcc_lo
	v_cmp_le_u32_e32 vcc_lo, s28, v7
	;; [unrolled: 2-line block ×3, first 2 shown]
	v_cndmask_b32_e64 v15, 0, -1, vcc_lo
	v_cmp_eq_u32_e32 vcc_lo, s29, v10
	v_cndmask_b32_e64 v7, v15, v7, s0
	v_cndmask_b32_e32 v10, v14, v13, vcc_lo
	v_add_co_u32 v13, vcc_lo, v4, 1
	v_add_co_ci_u32_e32 v14, vcc_lo, 0, v9, vcc_lo
	v_cmp_ne_u32_e32 vcc_lo, 0, v10
	v_cndmask_b32_e32 v8, v14, v12, vcc_lo
	v_cndmask_b32_e32 v10, v13, v11, vcc_lo
	v_cmp_ne_u32_e32 vcc_lo, 0, v7
	v_cndmask_b32_e32 v23, v9, v8, vcc_lo
	v_cndmask_b32_e32 v22, v4, v10, vcc_lo
.LBB0_4:                                ;   in Loop: Header=BB0_2 Depth=1
	s_andn2_saveexec_b32 s0, s1
	s_cbranch_execz .LBB0_6
; %bb.5:                                ;   in Loop: Header=BB0_2 Depth=1
	v_cvt_f32_u32_e32 v4, s28
	s_sub_i32 s1, 0, s28
	v_mov_b32_e32 v23, v3
	v_rcp_iflag_f32_e32 v4, v4
	v_mul_f32_e32 v4, 0x4f7ffffe, v4
	v_cvt_u32_f32_e32 v4, v4
	v_mul_lo_u32 v7, s1, v4
	v_mul_hi_u32 v7, v4, v7
	v_add_nc_u32_e32 v4, v4, v7
	v_mul_hi_u32 v4, v5, v4
	v_mul_lo_u32 v7, v4, s28
	v_add_nc_u32_e32 v8, 1, v4
	v_sub_nc_u32_e32 v7, v5, v7
	v_subrev_nc_u32_e32 v9, s28, v7
	v_cmp_le_u32_e32 vcc_lo, s28, v7
	v_cndmask_b32_e32 v7, v7, v9, vcc_lo
	v_cndmask_b32_e32 v4, v4, v8, vcc_lo
	v_cmp_le_u32_e32 vcc_lo, s28, v7
	v_add_nc_u32_e32 v8, 1, v4
	v_cndmask_b32_e32 v22, v4, v8, vcc_lo
.LBB0_6:                                ;   in Loop: Header=BB0_2 Depth=1
	s_or_b32 exec_lo, exec_lo, s0
	v_mul_lo_u32 v4, v23, s28
	v_mul_lo_u32 v9, v22, s29
	s_load_dwordx2 s[0:1], s[22:23], 0x0
	v_mad_u64_u32 v[7:8], null, v22, s28, 0
	s_load_dwordx2 s[28:29], s[6:7], 0x0
	s_add_u32 s26, s26, 1
	s_addc_u32 s27, s27, 0
	s_add_u32 s6, s6, 8
	s_addc_u32 s7, s7, 0
	s_add_u32 s22, s22, 8
	v_add3_u32 v4, v8, v9, v4
	v_sub_co_u32 v5, vcc_lo, v5, v7
	s_addc_u32 s23, s23, 0
	s_add_u32 s24, s24, 8
	v_sub_co_ci_u32_e32 v4, vcc_lo, v6, v4, vcc_lo
	s_addc_u32 s25, s25, 0
	s_waitcnt lgkmcnt(0)
	v_mul_lo_u32 v6, s0, v4
	v_mul_lo_u32 v7, s1, v5
	v_mad_u64_u32 v[1:2], null, s0, v5, v[1:2]
	v_mul_lo_u32 v4, s28, v4
	v_mul_lo_u32 v8, s29, v5
	v_mad_u64_u32 v[20:21], null, s28, v5, v[20:21]
	v_cmp_ge_u64_e64 s0, s[26:27], s[14:15]
	v_add3_u32 v2, v7, v2, v6
	v_add3_u32 v21, v8, v21, v4
	s_and_b32 vcc_lo, exec_lo, s0
	s_cbranch_vccnz .LBB0_9
; %bb.7:                                ;   in Loop: Header=BB0_2 Depth=1
	v_mov_b32_e32 v5, v22
	v_mov_b32_e32 v6, v23
	s_branch .LBB0_2
.LBB0_8:
	v_mov_b32_e32 v21, v2
	v_mov_b32_e32 v23, v6
	;; [unrolled: 1-line block ×4, first 2 shown]
.LBB0_9:
	s_load_dwordx2 s[0:1], s[4:5], 0x28
	v_mul_hi_u32 v3, 0x4a7904b, v0
	s_lshl_b64 s[6:7], s[14:15], 3
                                        ; implicit-def: $vgpr32
	s_add_u32 s4, s18, s6
	s_addc_u32 s5, s19, s7
	s_waitcnt lgkmcnt(0)
	v_cmp_gt_u64_e32 vcc_lo, s[0:1], v[22:23]
	v_cmp_le_u64_e64 s0, s[0:1], v[22:23]
	s_and_saveexec_b32 s1, s0
	s_xor_b32 s0, exec_lo, s1
; %bb.10:
	v_mul_u32_u24_e32 v1, 55, v3
                                        ; implicit-def: $vgpr3
	v_sub_nc_u32_e32 v32, v0, v1
                                        ; implicit-def: $vgpr0
                                        ; implicit-def: $vgpr1_vgpr2
; %bb.11:
	s_andn2_saveexec_b32 s1, s0
	s_cbranch_execz .LBB0_13
; %bb.12:
	s_add_u32 s6, s16, s6
	s_addc_u32 s7, s17, s7
	v_mul_u32_u24_e32 v3, 55, v3
	s_load_dwordx2 s[6:7], s[6:7], 0x0
	v_sub_nc_u32_e32 v32, v0, v3
	v_lshlrev_b64 v[0:1], 3, v[1:2]
	v_mad_u64_u32 v[3:4], null, s20, v32, 0
	v_add_nc_u32_e32 v14, 55, v32
	v_add_nc_u32_e32 v17, 0x6e, v32
	;; [unrolled: 1-line block ×4, first 2 shown]
	v_mad_u64_u32 v[5:6], null, s20, v14, 0
	v_mov_b32_e32 v2, v4
	v_mad_u64_u32 v[7:8], null, s20, v17, 0
	s_waitcnt lgkmcnt(0)
	v_mul_lo_u32 v4, s7, v22
	v_mul_lo_u32 v15, s6, v23
	v_mad_u64_u32 v[9:10], null, s6, v22, 0
	v_mad_u64_u32 v[11:12], null, s21, v32, v[2:3]
	v_mov_b32_e32 v2, v6
	v_mov_b32_e32 v6, v8
	v_mad_u64_u32 v[12:13], null, s20, v18, 0
	v_add3_u32 v10, v10, v15, v4
	v_mad_u64_u32 v[14:15], null, s21, v14, v[2:3]
	v_mov_b32_e32 v4, v11
	v_mad_u64_u32 v[15:16], null, s20, v19, 0
	v_lshlrev_b64 v[8:9], 3, v[9:10]
	v_mad_u64_u32 v[10:11], null, s21, v17, v[6:7]
	v_lshlrev_b64 v[3:4], 3, v[3:4]
	v_mov_b32_e32 v2, v13
	v_mov_b32_e32 v6, v14
	v_add_co_u32 v11, s0, s8, v8
	v_add_co_ci_u32_e64 v9, s0, s9, v9, s0
	v_mov_b32_e32 v8, v10
	v_add_co_u32 v24, s0, v11, v0
	v_add_co_ci_u32_e64 v25, s0, v9, v1, s0
	v_add_nc_u32_e32 v11, 0x113, v32
	v_add_co_u32 v3, s0, v24, v3
	v_lshlrev_b64 v[0:1], 3, v[5:6]
	v_add_nc_u32_e32 v14, 0x14a, v32
	v_mad_u64_u32 v[9:10], null, s20, v11, 0
	v_mad_u64_u32 v[5:6], null, s21, v18, v[2:3]
	v_mov_b32_e32 v2, v16
	v_lshlrev_b64 v[6:7], 3, v[7:8]
	v_add_co_ci_u32_e64 v4, s0, v25, v4, s0
	v_add_co_u32 v0, s0, v24, v0
	v_mad_u64_u32 v[16:17], null, s21, v19, v[2:3]
	v_mad_u64_u32 v[17:18], null, s20, v14, 0
	v_mov_b32_e32 v2, v10
	v_mov_b32_e32 v13, v5
	v_add_co_ci_u32_e64 v1, s0, v25, v1, s0
	v_add_co_u32 v5, s0, v24, v6
	v_mad_u64_u32 v[10:11], null, s21, v11, v[2:3]
	v_mov_b32_e32 v2, v18
	v_add_co_ci_u32_e64 v6, s0, v25, v7, s0
	v_lshlrev_b64 v[7:8], 3, v[12:13]
	v_mad_u64_u32 v[11:12], null, s21, v14, v[2:3]
	v_lshlrev_b64 v[12:13], 3, v[15:16]
	v_lshlrev_b64 v[9:10], 3, v[9:10]
	v_add_co_u32 v7, s0, v24, v7
	v_add_co_ci_u32_e64 v8, s0, v25, v8, s0
	v_mov_b32_e32 v18, v11
	v_add_co_u32 v11, s0, v24, v12
	v_add_co_ci_u32_e64 v12, s0, v25, v13, s0
	v_lshlrev_b64 v[13:14], 3, v[17:18]
	v_add_co_u32 v9, s0, v24, v9
	v_add_co_ci_u32_e64 v10, s0, v25, v10, s0
	v_add_co_u32 v13, s0, v24, v13
	v_add_co_ci_u32_e64 v14, s0, v25, v14, s0
	s_clause 0x6
	global_load_dwordx2 v[2:3], v[3:4], off
	global_load_dwordx2 v[0:1], v[0:1], off
	;; [unrolled: 1-line block ×7, first 2 shown]
	v_lshl_add_u32 v10, v32, 3, 0
	v_add_nc_u32_e32 v15, 0x400, v10
	s_waitcnt vmcnt(5)
	ds_write2_b64 v10, v[2:3], v[0:1] offset1:55
	s_waitcnt vmcnt(3)
	ds_write2_b64 v10, v[4:5], v[6:7] offset0:110 offset1:165
	s_waitcnt vmcnt(1)
	ds_write2_b64 v15, v[11:12], v[8:9] offset0:92 offset1:147
	s_waitcnt vmcnt(0)
	ds_write_b64 v10, v[13:14] offset:2640
.LBB0_13:
	s_or_b32 exec_lo, exec_lo, s1
	v_lshl_add_u32 v33, v32, 3, 0
	s_waitcnt lgkmcnt(0)
	s_barrier
	buffer_gl0_inv
	s_mov_b32 s1, exec_lo
	v_add_nc_u32_e32 v4, 0x800, v33
	ds_read2_b64 v[0:3], v33 offset1:35
	ds_read_b64 v[30:31], v33 offset:2800
	ds_read2_b64 v[12:15], v33 offset0:140 offset1:175
	ds_read2_b64 v[8:11], v33 offset0:210 offset1:245
	;; [unrolled: 1-line block ×4, first 2 shown]
	s_waitcnt lgkmcnt(0)
	s_barrier
	buffer_gl0_inv
	v_sub_f32_e32 v40, v3, v31
	v_add_f32_e32 v34, v30, v2
	v_add_f32_e32 v46, v31, v3
	v_sub_f32_e32 v35, v2, v30
	v_sub_f32_e32 v45, v13, v11
	v_mul_f32_e32 v57, 0xbf68dda4, v40
	v_sub_f32_e32 v50, v17, v7
	v_mul_f32_e32 v62, 0x3ed4b147, v46
	v_add_f32_e32 v39, v6, v16
	v_add_f32_e32 v53, v7, v17
	v_sub_f32_e32 v49, v19, v5
	v_fma_f32 v24, 0x3ed4b147, v34, -v57
	v_mul_f32_e32 v58, 0xbf4178ce, v50
	v_sub_f32_e32 v42, v16, v6
	v_add_f32_e32 v38, v4, v18
	v_add_f32_e32 v52, v5, v19
	v_fmamk_f32 v25, v35, 0xbf68dda4, v62
	v_mul_f32_e32 v63, 0xbf27a4f4, v53
	v_mul_f32_e32 v55, 0x3e903f40, v49
	v_add_f32_e32 v24, v0, v24
	v_fma_f32 v26, 0xbf27a4f4, v39, -v58
	v_add_f32_e32 v36, v10, v12
	v_add_f32_e32 v51, v11, v13
	v_sub_f32_e32 v41, v18, v4
	v_mul_f32_e32 v54, 0x3f7d64f0, v45
	v_mul_f32_e32 v60, 0xbf75a155, v52
	v_add_f32_e32 v25, v1, v25
	v_fmamk_f32 v27, v42, 0xbf4178ce, v63
	v_fma_f32 v28, 0xbf75a155, v38, -v55
	v_add_f32_e32 v24, v26, v24
	v_sub_f32_e32 v37, v12, v10
	v_mul_f32_e32 v59, 0xbe11bafb, v51
	v_fmamk_f32 v29, v41, 0x3e903f40, v60
	v_add_f32_e32 v25, v27, v25
	v_fma_f32 v26, 0xbe11bafb, v36, -v54
	v_add_f32_e32 v24, v28, v24
	v_mul_f32_e32 v67, 0xbf7d64f0, v40
	v_mul_f32_e32 v73, 0xbe11bafb, v46
	v_fmamk_f32 v27, v37, 0x3f7d64f0, v59
	v_add_f32_e32 v25, v29, v25
	v_add_f32_e32 v24, v26, v24
	v_fma_f32 v26, 0xbe11bafb, v34, -v67
	v_mul_f32_e32 v68, 0x3e903f40, v50
	v_fmamk_f32 v28, v35, 0xbf7d64f0, v73
	v_mul_f32_e32 v72, 0xbf75a155, v53
	v_add_f32_e32 v25, v27, v25
	v_add_f32_e32 v26, v0, v26
	v_fma_f32 v27, 0xbf75a155, v39, -v68
	v_add_f32_e32 v28, v1, v28
	v_fmamk_f32 v29, v42, 0x3e903f40, v72
	v_mul_f32_e32 v65, 0x3f68dda4, v49
	v_mul_f32_e32 v70, 0x3ed4b147, v52
	v_add_f32_e32 v26, v27, v26
	v_mul_f32_e32 v64, 0xbf0a6770, v45
	v_add_f32_e32 v27, v29, v28
	v_fma_f32 v28, 0x3ed4b147, v38, -v65
	v_fmamk_f32 v29, v41, 0x3f68dda4, v70
	v_mul_f32_e32 v69, 0x3f575c64, v51
	v_mul_f32_e32 v77, 0xbf4178ce, v40
	v_mul_f32_e32 v82, 0xbf27a4f4, v46
	v_add_f32_e32 v26, v28, v26
	v_add_f32_e32 v27, v29, v27
	v_fma_f32 v28, 0x3f575c64, v36, -v64
	v_fmamk_f32 v29, v37, 0xbf0a6770, v69
	v_sub_f32_e32 v48, v15, v9
	v_mul_f32_e32 v78, 0x3f7d64f0, v50
	v_mul_f32_e32 v83, 0xbe11bafb, v53
	v_add_f32_e32 v26, v28, v26
	v_add_f32_e32 v27, v29, v27
	v_fma_f32 v28, 0xbf27a4f4, v34, -v77
	v_fmamk_f32 v29, v35, 0xbf4178ce, v82
	v_add_f32_e32 v43, v8, v14
	v_mul_f32_e32 v56, 0x3f0a6770, v48
	v_fma_f32 v71, 0xbe11bafb, v39, -v78
	v_add_f32_e32 v28, v0, v28
	v_add_f32_e32 v29, v1, v29
	v_fmamk_f32 v74, v42, 0x3f7d64f0, v83
	v_mul_f32_e32 v76, 0xbf0a6770, v49
	v_mul_f32_e32 v81, 0x3f575c64, v52
	v_add_f32_e32 v47, v9, v15
	v_fma_f32 v66, 0x3f575c64, v43, -v56
	v_add_f32_e32 v28, v71, v28
	v_add_f32_e32 v29, v74, v29
	v_fma_f32 v74, 0x3f575c64, v38, -v76
	v_fmamk_f32 v79, v41, 0xbf0a6770, v81
	v_mul_f32_e32 v75, 0xbe903f40, v45
	v_mul_f32_e32 v80, 0xbf75a155, v51
	v_sub_f32_e32 v44, v14, v8
	v_mul_f32_e32 v61, 0x3f575c64, v47
	v_add_f32_e32 v24, v66, v24
	v_mul_f32_e32 v66, 0xbf4178ce, v48
	v_mul_f32_e32 v71, 0xbf27a4f4, v47
	v_add_f32_e32 v28, v74, v28
	v_add_f32_e32 v29, v79, v29
	v_fma_f32 v86, 0xbf75a155, v36, -v75
	v_fmamk_f32 v87, v37, 0xbe903f40, v80
	v_mul_f32_e32 v74, 0x3f68dda4, v48
	v_mul_f32_e32 v79, 0x3ed4b147, v47
	v_fmamk_f32 v84, v44, 0x3f0a6770, v61
	v_fma_f32 v85, 0xbf27a4f4, v43, -v66
	v_fmamk_f32 v88, v44, 0xbf4178ce, v71
	v_add_f32_e32 v28, v86, v28
	v_add_f32_e32 v29, v87, v29
	v_fma_f32 v86, 0x3ed4b147, v43, -v74
	v_fmamk_f32 v87, v44, 0x3f68dda4, v79
	v_add_f32_e32 v25, v84, v25
	v_add_f32_e32 v26, v85, v26
	;; [unrolled: 1-line block ×5, first 2 shown]
	v_cmpx_gt_u32_e32 35, v32
	s_cbranch_execz .LBB0_15
; %bb.14:
	v_mul_f32_e32 v84, 0xbf75a155, v46
	v_mul_f32_e32 v85, 0xbe903f40, v40
	;; [unrolled: 1-line block ×5, first 2 shown]
	v_fmamk_f32 v89, v35, 0x3e903f40, v84
	v_fmamk_f32 v92, v34, 0xbf75a155, v85
	;; [unrolled: 1-line block ×3, first 2 shown]
	v_mul_f32_e32 v90, 0xbf4178ce, v49
	v_mul_f32_e32 v91, 0x3ed4b147, v51
	v_add_f32_e32 v89, v1, v89
	v_fmamk_f32 v95, v39, 0x3f575c64, v88
	v_add_f32_e32 v92, v0, v92
	v_fmamk_f32 v96, v41, 0x3f4178ce, v87
	v_fmamk_f32 v97, v38, 0xbf27a4f4, v90
	v_add_f32_e32 v89, v93, v89
	v_mul_f32_e32 v93, 0xbe11bafb, v47
	v_add_f32_e32 v92, v95, v92
	v_fmamk_f32 v95, v37, 0xbf68dda4, v91
	v_mul_f32_e32 v94, 0x3f68dda4, v45
	v_add_f32_e32 v89, v96, v89
	v_mul_f32_e32 v96, 0xbf4178ce, v35
	v_add_f32_e32 v92, v97, v92
	v_mul_f32_e32 v97, 0x3f7d64f0, v42
	v_fmamk_f32 v98, v36, 0x3ed4b147, v94
	v_add_f32_e32 v89, v95, v89
	v_sub_f32_e32 v82, v82, v96
	v_fmamk_f32 v95, v44, 0x3f7d64f0, v93
	v_mul_f32_e32 v96, 0xbf7d64f0, v48
	v_sub_f32_e32 v83, v83, v97
	v_add_f32_e32 v92, v98, v92
	v_add_f32_e32 v97, v1, v82
	;; [unrolled: 1-line block ×3, first 2 shown]
	v_mul_f32_e32 v89, 0xbf27a4f4, v34
	v_mul_f32_e32 v95, 0xbf0a6770, v41
	v_fmamk_f32 v98, v43, 0xbe11bafb, v96
	v_add_f32_e32 v83, v83, v97
	v_mul_f32_e32 v97, 0xbe11bafb, v39
	v_add_f32_e32 v77, v89, v77
	v_add_f32_e32 v2, v0, v2
	v_sub_f32_e32 v89, v81, v95
	v_add_f32_e32 v81, v98, v92
	v_mul_f32_e32 v92, 0xbe903f40, v37
	v_add_f32_e32 v78, v97, v78
	v_add_f32_e32 v77, v0, v77
	;; [unrolled: 1-line block ×5, first 2 shown]
	v_mul_f32_e32 v89, 0x3f575c64, v38
	v_sub_f32_e32 v80, v80, v92
	v_add_f32_e32 v77, v78, v77
	v_mul_f32_e32 v78, 0x3f68dda4, v44
	v_add_f32_e32 v3, v3, v17
	v_add_f32_e32 v2, v2, v18
	v_add_f32_e32 v76, v89, v76
	v_add_f32_e32 v80, v80, v83
	v_mul_f32_e32 v83, 0xbf7d64f0, v35
	v_sub_f32_e32 v78, v79, v78
	v_mul_f32_e32 v79, 0xbf75a155, v36
	v_mul_f32_e32 v40, 0xbf0a6770, v40
	v_add_f32_e32 v3, v3, v19
	v_add_f32_e32 v2, v2, v12
	v_mul_f32_e32 v89, 0xbf68dda4, v35
	v_add_f32_e32 v76, v76, v77
	v_mul_f32_e32 v77, 0x3e903f40, v42
	v_sub_f32_e32 v73, v73, v83
	v_add_f32_e32 v75, v79, v75
	v_mul_f32_e32 v79, 0x3ed4b147, v43
	v_fmamk_f32 v17, v34, 0x3f575c64, v40
	v_mul_f32_e32 v18, 0xbf68dda4, v50
	v_add_f32_e32 v3, v3, v13
	v_add_f32_e32 v2, v2, v14
	v_mul_f32_e32 v83, 0xbe11bafb, v34
	v_sub_f32_e32 v72, v72, v77
	v_add_f32_e32 v73, v1, v73
	v_add_f32_e32 v75, v75, v76
	;; [unrolled: 1-line block ×3, first 2 shown]
	v_mul_f32_e32 v79, 0xbf4178ce, v42
	v_sub_f32_e32 v62, v62, v89
	v_add_f32_e32 v17, v0, v17
	v_fmamk_f32 v12, v39, 0x3ed4b147, v18
	v_mul_f32_e32 v13, 0xbf7d64f0, v49
	v_add_f32_e32 v15, v3, v15
	v_add_f32_e32 v2, v2, v8
	v_mul_f32_e32 v92, 0x3ed4b147, v34
	v_add_f32_e32 v95, v72, v73
	v_mul_f32_e32 v97, 0xbf75a155, v39
	;; [unrolled: 2-line block ×3, first 2 shown]
	v_mul_f32_e32 v75, 0xbf0a6770, v37
	v_add_f32_e32 v67, v83, v67
	v_add_f32_e32 v62, v1, v62
	v_sub_f32_e32 v63, v63, v79
	v_add_f32_e32 v12, v12, v17
	v_fmamk_f32 v14, v38, 0xbe11bafb, v13
	v_add_f32_e32 v9, v15, v9
	v_fmac_f32_e32 v84, 0xbe903f40, v35
	v_add_f32_e32 v2, v2, v10
	v_mul_f32_e32 v77, 0xbf27a4f4, v39
	v_mul_f32_e32 v76, 0x3f68dda4, v41
	v_add_f32_e32 v73, v78, v80
	v_mul_f32_e32 v78, 0x3ed4b147, v38
	v_sub_f32_e32 v69, v69, v75
	v_mul_f32_e32 v75, 0x3f7d64f0, v37
	v_add_f32_e32 v68, v97, v68
	v_add_f32_e32 v67, v0, v67
	;; [unrolled: 1-line block ×4, first 2 shown]
	v_sub_f32_e32 v63, v60, v74
	v_add_f32_e32 v8, v14, v12
	v_mul_f32_e32 v12, 0xbf4178ce, v45
	v_add_f32_e32 v9, v9, v11
	v_add_f32_e32 v10, v1, v84
	v_fmac_f32_e32 v86, 0x3f0a6770, v42
	v_add_f32_e32 v2, v2, v4
	v_sub_f32_e32 v70, v70, v76
	v_mul_f32_e32 v76, 0xbf75a155, v38
	v_mul_f32_e32 v83, 0x3f575c64, v36
	v_add_f32_e32 v67, v68, v67
	v_add_f32_e32 v65, v78, v65
	;; [unrolled: 1-line block ×5, first 2 shown]
	v_sub_f32_e32 v59, v59, v75
	v_mul_f32_e32 v46, 0x3f575c64, v46
	v_fmamk_f32 v11, v36, 0xbf27a4f4, v12
	v_mul_f32_e32 v14, 0xbe903f40, v48
	v_add_f32_e32 v5, v9, v5
	v_add_f32_e32 v4, v86, v10
	v_fmac_f32_e32 v87, 0xbf4178ce, v41
	v_add_f32_e32 v6, v2, v6
	v_mul_f32_e32 v80, 0xbe11bafb, v36
	v_mul_f32_e32 v89, 0x3f0a6770, v44
	v_add_f32_e32 v65, v65, v67
	v_add_f32_e32 v64, v83, v64
	;; [unrolled: 1-line block ×5, first 2 shown]
	v_fmamk_f32 v59, v35, 0x3f0a6770, v46
	v_mul_f32_e32 v53, 0x3ed4b147, v53
	v_add_f32_e32 v8, v11, v8
	v_fmamk_f32 v9, v43, 0xbf75a155, v14
	v_add_f32_e32 v5, v5, v7
	v_add_f32_e32 v7, v87, v4
	v_add_f32_e32 v4, v6, v30
	v_fma_f32 v6, 0xbf75a155, v34, -v85
	v_add_f32_e32 v70, v70, v95
	v_add_f32_e32 v64, v64, v65
	v_sub_f32_e32 v61, v61, v89
	v_add_f32_e32 v55, v55, v57
	v_add_f32_e32 v54, v80, v54
	;; [unrolled: 1-line block ×3, first 2 shown]
	v_fmamk_f32 v62, v42, 0x3f68dda4, v53
	v_mul_f32_e32 v65, 0xbe11bafb, v52
	v_add_f32_e32 v2, v9, v8
	v_fmac_f32_e32 v46, 0xbf0a6770, v35
	v_fma_f32 v8, 0x3f575c64, v34, -v40
	v_add_f32_e32 v6, v0, v6
	v_fma_f32 v9, 0x3f575c64, v39, -v88
	v_add_f32_e32 v69, v69, v70
	v_mul_f32_e32 v70, 0x3f575c64, v43
	v_add_f32_e32 v52, v61, v58
	v_add_f32_e32 v54, v54, v55
	;; [unrolled: 1-line block ×3, first 2 shown]
	v_fmamk_f32 v57, v41, 0x3f7d64f0, v65
	v_mul_f32_e32 v58, 0xbf27a4f4, v51
	v_add_f32_e32 v1, v1, v46
	v_fmac_f32_e32 v53, 0xbf68dda4, v42
	v_add_f32_e32 v0, v0, v8
	v_fma_f32 v8, 0x3ed4b147, v39, -v18
	v_add_f32_e32 v6, v9, v6
	v_fma_f32 v9, 0xbf27a4f4, v38, -v90
	v_add_f32_e32 v51, v70, v56
	v_add_f32_e32 v55, v57, v55
	v_fmamk_f32 v56, v37, 0x3f4178ce, v58
	v_mul_f32_e32 v19, 0xbf75a155, v47
	v_add_f32_e32 v1, v53, v1
	v_fmac_f32_e32 v65, 0xbf7d64f0, v41
	v_add_f32_e32 v0, v8, v0
	v_fma_f32 v8, 0xbe11bafb, v38, -v13
	v_mul_f32_e32 v68, 0xbf4178ce, v44
	v_mul_f32_e32 v78, 0xbf27a4f4, v43
	v_fmac_f32_e32 v91, 0x3f68dda4, v37
	v_add_f32_e32 v6, v9, v6
	v_fma_f32 v9, 0x3ed4b147, v36, -v94
	v_add_f32_e32 v16, v56, v55
	v_fmamk_f32 v47, v44, 0x3e903f40, v19
	v_add_f32_e32 v1, v65, v1
	v_fmac_f32_e32 v58, 0xbf4178ce, v37
	v_add_f32_e32 v0, v8, v0
	v_fma_f32 v8, 0xbf27a4f4, v36, -v12
	v_sub_f32_e32 v68, v71, v68
	v_add_f32_e32 v63, v78, v66
	v_add_f32_e32 v7, v91, v7
	v_fmac_f32_e32 v93, 0xbf7d64f0, v44
	v_add_f32_e32 v6, v9, v6
	v_fma_f32 v9, 0xbe11bafb, v43, -v96
	v_add_f32_e32 v3, v47, v16
	v_add_f32_e32 v5, v5, v31
	;; [unrolled: 1-line block ×3, first 2 shown]
	v_fmac_f32_e32 v19, 0xbe903f40, v44
	v_add_f32_e32 v8, v8, v0
	v_fma_f32 v11, 0xbf75a155, v43, -v14
	v_mad_u32_u24 v12, 0x50, v32, v33
	v_add_f32_e32 v60, v68, v69
	v_add_f32_e32 v59, v63, v64
	;; [unrolled: 1-line block ×7, first 2 shown]
	ds_write2_b64 v12, v[4:5], v[2:3] offset1:1
	ds_write2_b64 v12, v[51:52], v[59:60] offset0:2 offset1:3
	ds_write2_b64 v12, v[72:73], v[81:82] offset0:4 offset1:5
	;; [unrolled: 1-line block ×4, first 2 shown]
	ds_write_b64 v12, v[6:7] offset:80
.LBB0_15:
	s_or_b32 exec_lo, exec_lo, s1
	v_and_b32_e32 v0, 0xff, v32
	s_load_dwordx2 s[4:5], s[4:5], 0x0
	s_waitcnt lgkmcnt(0)
	s_barrier
	buffer_gl0_inv
	v_mul_lo_u16 v0, 0x75, v0
	v_add_nc_u32_e32 v12, 0x400, v33
	v_mov_b32_e32 v31, 0x268
	v_mov_b32_e32 v42, 3
	v_cmp_gt_u32_e64 s0, 22, v32
	v_lshrrev_b16 v0, 8, v0
	v_sub_nc_u16 v1, v32, v0
	v_lshrrev_b16 v1, 1, v1
	v_and_b32_e32 v1, 0x7f, v1
	v_add_nc_u16 v0, v1, v0
	v_mov_b32_e32 v1, 6
	v_lshrrev_b16 v19, 3, v0
	v_mul_lo_u16 v0, v19, 11
	v_mul_u32_u24_sdwa v19, v19, v31 dst_sel:DWORD dst_unused:UNUSED_PAD src0_sel:WORD_0 src1_sel:DWORD
	v_sub_nc_u16 v30, v32, v0
	v_mul_u32_u24_sdwa v0, v30, v1 dst_sel:DWORD dst_unused:UNUSED_PAD src0_sel:BYTE_0 src1_sel:DWORD
	v_lshlrev_b32_sdwa v30, v42, v30 dst_sel:DWORD dst_unused:UNUSED_PAD src0_sel:DWORD src1_sel:BYTE_0
	v_lshlrev_b32_e32 v8, 3, v0
	v_add3_u32 v19, 0, v19, v30
	s_clause 0x2
	global_load_dwordx4 v[0:3], v8, s[12:13]
	global_load_dwordx4 v[4:7], v8, s[12:13] offset:16
	global_load_dwordx4 v[8:11], v8, s[12:13] offset:32
	ds_read2_b64 v[13:16], v33 offset1:55
	ds_read2_b64 v[34:37], v33 offset0:110 offset1:165
	ds_read2_b64 v[38:41], v12 offset0:92 offset1:147
	ds_read_b64 v[17:18], v33 offset:2640
	s_waitcnt vmcnt(0) lgkmcnt(0)
	s_barrier
	buffer_gl0_inv
	v_mul_f32_e32 v30, v1, v16
	v_mul_f32_e32 v1, v1, v15
	;; [unrolled: 1-line block ×12, first 2 shown]
	v_fmac_f32_e32 v30, v0, v15
	v_fma_f32 v0, v0, v16, -v1
	v_fmac_f32_e32 v31, v2, v34
	v_fma_f32 v1, v2, v35, -v3
	v_fma_f32 v2, v4, v37, -v5
	v_fmac_f32_e32 v45, v10, v17
	v_fma_f32 v3, v10, v18, -v11
	v_fmac_f32_e32 v44, v8, v40
	;; [unrolled: 2-line block ×3, first 2 shown]
	v_fmac_f32_e32 v43, v6, v38
	v_fma_f32 v4, v6, v39, -v7
	v_add_f32_e32 v6, v30, v45
	v_add_f32_e32 v7, v0, v3
	v_sub_f32_e32 v0, v0, v3
	v_add_f32_e32 v3, v31, v44
	v_add_f32_e32 v9, v1, v5
	v_sub_f32_e32 v10, v31, v44
	v_sub_f32_e32 v1, v1, v5
	v_add_f32_e32 v5, v42, v43
	v_add_f32_e32 v11, v2, v4
	v_sub_f32_e32 v15, v43, v42
	;; [unrolled: 4-line block ×3, first 2 shown]
	v_sub_f32_e32 v17, v3, v6
	v_sub_f32_e32 v18, v9, v7
	;; [unrolled: 1-line block ×6, first 2 shown]
	v_add_f32_e32 v30, v15, v10
	v_add_f32_e32 v31, v2, v1
	v_sub_f32_e32 v34, v15, v10
	v_sub_f32_e32 v35, v2, v1
	v_add_f32_e32 v36, v5, v4
	v_add_f32_e32 v11, v11, v16
	v_sub_f32_e32 v10, v10, v8
	v_sub_f32_e32 v1, v1, v0
	;; [unrolled: 1-line block ×4, first 2 shown]
	v_add_f32_e32 v8, v30, v8
	v_add_f32_e32 v0, v31, v0
	v_mul_f32_e32 v6, 0x3f4a47b2, v6
	v_mul_f32_e32 v7, 0x3f4a47b2, v7
	;; [unrolled: 1-line block ×6, first 2 shown]
	v_add_f32_e32 v4, v36, v13
	v_add_f32_e32 v5, v11, v14
	v_mul_f32_e32 v35, 0xbf5ff5aa, v10
	v_mul_f32_e32 v37, 0xbf5ff5aa, v1
	v_fmamk_f32 v3, v3, 0x3d64c772, v6
	v_fmamk_f32 v9, v9, 0x3d64c772, v7
	v_fma_f32 v13, 0x3f3bfb3b, v17, -v16
	v_fma_f32 v14, 0x3f3bfb3b, v18, -v30
	;; [unrolled: 1-line block ×4, first 2 shown]
	v_fmamk_f32 v16, v15, 0xbeae86e6, v31
	v_fmamk_f32 v17, v2, 0xbeae86e6, v34
	v_fma_f32 v18, 0xbf5ff5aa, v10, -v31
	v_fmamk_f32 v10, v36, 0xbf955555, v4
	v_fmamk_f32 v11, v11, 0xbf955555, v5
	v_fma_f32 v1, 0xbf5ff5aa, v1, -v34
	v_fma_f32 v15, 0x3eae86e6, v15, -v35
	;; [unrolled: 1-line block ×3, first 2 shown]
	v_fmac_f32_e32 v16, 0xbee1c552, v8
	v_fmac_f32_e32 v17, 0xbee1c552, v0
	v_add_f32_e32 v3, v3, v10
	v_add_f32_e32 v30, v9, v11
	v_fmac_f32_e32 v18, 0xbee1c552, v8
	v_fmac_f32_e32 v1, 0xbee1c552, v0
	;; [unrolled: 1-line block ×4, first 2 shown]
	v_add_f32_e32 v0, v13, v10
	v_add_f32_e32 v31, v6, v10
	v_add_f32_e32 v34, v7, v11
	v_add_f32_e32 v14, v14, v11
	v_add_f32_e32 v6, v17, v3
	v_sub_f32_e32 v7, v30, v16
	v_add_f32_e32 v8, v2, v31
	v_sub_f32_e32 v9, v34, v15
	v_sub_f32_e32 v10, v0, v1
	v_add_f32_e32 v11, v18, v14
	v_add_f32_e32 v13, v1, v0
	v_sub_f32_e32 v14, v14, v18
	v_sub_f32_e32 v0, v31, v2
	v_add_f32_e32 v1, v15, v34
	v_sub_f32_e32 v2, v3, v17
	v_add_f32_e32 v3, v16, v30
	ds_write2_b64 v19, v[4:5], v[6:7] offset1:11
	ds_write2_b64 v19, v[8:9], v[10:11] offset0:22 offset1:33
	ds_write2_b64 v19, v[13:14], v[0:1] offset0:44 offset1:55
	ds_write_b64 v19, v[2:3] offset:528
	s_waitcnt lgkmcnt(0)
	s_barrier
	buffer_gl0_inv
	ds_read2_b64 v[4:7], v33 offset1:77
	ds_read2_b64 v[8:11], v33 offset0:154 offset1:231
	ds_read_b64 v[14:15], v33 offset:2464
	s_and_saveexec_b32 s1, s0
	s_cbranch_execz .LBB0_17
; %bb.16:
	ds_read2_b64 v[16:19], v12 offset0:81 offset1:158
	ds_read2_b64 v[0:3], v33 offset0:55 offset1:132
	ds_read_b64 v[24:25], v33 offset:2904
	s_waitcnt lgkmcnt(2)
	v_mov_b32_e32 v27, v19
	v_mov_b32_e32 v26, v18
	;; [unrolled: 1-line block ×4, first 2 shown]
.LBB0_17:
	s_or_b32 exec_lo, exec_lo, s1
	v_lshlrev_b32_e32 v12, 2, v32
	v_mov_b32_e32 v13, 0
	v_lshlrev_b64 v[16:17], 3, v[12:13]
	v_add_co_u32 v30, s1, s12, v16
	v_add_co_ci_u32_e64 v31, s1, s13, v17, s1
	s_clause 0x1
	global_load_dwordx4 v[16:19], v[30:31], off offset:528
	global_load_dwordx4 v[34:37], v[30:31], off offset:544
	s_waitcnt vmcnt(0) lgkmcnt(0)
	s_barrier
	buffer_gl0_inv
	v_mul_f32_e32 v12, v17, v7
	v_mul_f32_e32 v17, v17, v6
	;; [unrolled: 1-line block ×8, first 2 shown]
	v_fmac_f32_e32 v12, v16, v6
	v_fma_f32 v6, v16, v7, -v17
	v_fmac_f32_e32 v30, v18, v8
	v_fma_f32 v7, v18, v9, -v19
	;; [unrolled: 2-line block ×4, first 2 shown]
	v_add_f32_e32 v8, v4, v12
	v_add_f32_e32 v10, v30, v31
	v_sub_f32_e32 v11, v12, v30
	v_sub_f32_e32 v14, v38, v31
	v_add_f32_e32 v35, v5, v6
	v_add_f32_e32 v36, v7, v9
	;; [unrolled: 1-line block ×4, first 2 shown]
	v_sub_f32_e32 v16, v6, v15
	v_sub_f32_e32 v17, v7, v9
	;; [unrolled: 1-line block ×7, first 2 shown]
	v_add_f32_e32 v8, v8, v30
	v_fma_f32 v6, -0.5, v10, v4
	v_add_f32_e32 v30, v11, v14
	v_add_f32_e32 v11, v35, v7
	v_fma_f32 v7, -0.5, v36, v5
	v_fma_f32 v4, -0.5, v18, v4
	;; [unrolled: 1-line block ×3, first 2 shown]
	v_sub_f32_e32 v34, v31, v38
	v_sub_f32_e32 v40, v15, v9
	;; [unrolled: 1-line block ×3, first 2 shown]
	v_add_f32_e32 v14, v8, v31
	v_fmamk_f32 v8, v16, 0xbf737871, v6
	v_add_f32_e32 v31, v11, v9
	v_fmamk_f32 v9, v12, 0x3f737871, v7
	v_fmamk_f32 v10, v17, 0x3f737871, v4
	v_fmac_f32_e32 v4, 0xbf737871, v17
	v_fmamk_f32 v11, v37, 0xbf737871, v5
	v_fmac_f32_e32 v5, 0x3f737871, v37
	v_fmac_f32_e32 v6, 0x3f737871, v16
	;; [unrolled: 1-line block ×3, first 2 shown]
	v_add_f32_e32 v18, v19, v34
	v_add_f32_e32 v19, v39, v40
	v_fmac_f32_e32 v8, 0xbf167918, v17
	v_fmac_f32_e32 v9, 0x3f167918, v37
	v_add_f32_e32 v34, v42, v43
	v_fmac_f32_e32 v10, 0xbf167918, v16
	v_fmac_f32_e32 v4, 0x3f167918, v16
	;; [unrolled: 1-line block ×6, first 2 shown]
	v_add_f32_e32 v14, v14, v38
	v_add_f32_e32 v15, v31, v15
	v_fmac_f32_e32 v8, 0x3e9e377a, v30
	v_fmac_f32_e32 v9, 0x3e9e377a, v19
	;; [unrolled: 1-line block ×8, first 2 shown]
	ds_write2_b64 v33, v[14:15], v[8:9] offset1:77
	ds_write2_b64 v33, v[10:11], v[4:5] offset0:154 offset1:231
	ds_write_b64 v33, v[6:7] offset:2464
	s_and_saveexec_b32 s1, s0
	s_cbranch_execz .LBB0_19
; %bb.18:
	v_cndmask_b32_e64 v4, 0xffffffea, 55, s0
	v_add_lshl_u32 v12, v32, v4, 2
	v_lshlrev_b64 v[4:5], 3, v[12:13]
	v_add_nc_u32_e32 v12, 0x400, v33
	v_add_co_u32 v8, s0, s12, v4
	v_add_co_ci_u32_e64 v9, s0, s13, v5, s0
	s_clause 0x1
	global_load_dwordx4 v[4:7], v[8:9], off offset:544
	global_load_dwordx4 v[8:11], v[8:9], off offset:528
	s_waitcnt vmcnt(1)
	v_mul_f32_e32 v13, v24, v7
	v_mul_f32_e32 v14, v26, v5
	s_waitcnt vmcnt(0)
	v_mul_f32_e32 v15, v28, v11
	v_mul_f32_e32 v16, v2, v9
	;; [unrolled: 1-line block ×6, first 2 shown]
	v_fma_f32 v13, v25, v6, -v13
	v_fma_f32 v7, v27, v4, -v14
	v_fma_f32 v14, v29, v10, -v15
	v_fma_f32 v3, v3, v8, -v16
	v_fmac_f32_e32 v9, v2, v8
	v_fmac_f32_e32 v11, v28, v10
	;; [unrolled: 1-line block ×4, first 2 shown]
	v_add_f32_e32 v2, v1, v3
	v_add_f32_e32 v15, v3, v13
	;; [unrolled: 1-line block ×6, first 2 shown]
	v_sub_f32_e32 v6, v14, v3
	v_sub_f32_e32 v8, v7, v13
	v_sub_f32_e32 v16, v9, v17
	v_sub_f32_e32 v18, v3, v14
	v_sub_f32_e32 v27, v3, v13
	v_sub_f32_e32 v29, v14, v7
	v_add_f32_e32 v14, v2, v14
	v_fma_f32 v3, -0.5, v15, v1
	v_fmac_f32_e32 v1, -0.5, v24
	v_fma_f32 v2, -0.5, v28, v0
	v_fmac_f32_e32 v0, -0.5, v31
	v_sub_f32_e32 v10, v11, v5
	v_add_f32_e32 v4, v4, v11
	v_sub_f32_e32 v19, v13, v7
	v_sub_f32_e32 v25, v11, v9
	;; [unrolled: 1-line block ×4, first 2 shown]
	v_add_f32_e32 v11, v6, v8
	v_add_f32_e32 v8, v14, v7
	v_fmamk_f32 v7, v16, 0xbf737871, v1
	v_fmac_f32_e32 v1, 0x3f737871, v16
	v_fmamk_f32 v6, v27, 0x3f737871, v0
	v_fmac_f32_e32 v0, 0xbf737871, v27
	v_sub_f32_e32 v26, v5, v17
	v_add_f32_e32 v14, v4, v5
	v_fmamk_f32 v5, v10, 0x3f737871, v3
	v_fmac_f32_e32 v3, 0xbf737871, v10
	v_fmamk_f32 v4, v29, 0xbf737871, v2
	v_fmac_f32_e32 v2, 0x3f737871, v29
	v_add_f32_e32 v15, v18, v19
	v_add_f32_e32 v19, v9, v30
	v_fmac_f32_e32 v1, 0x3f167918, v10
	v_fmac_f32_e32 v0, 0xbf167918, v29
	v_add_f32_e32 v18, v25, v26
	v_fmac_f32_e32 v5, 0xbf167918, v16
	v_fmac_f32_e32 v3, 0x3f167918, v16
	;; [unrolled: 1-line block ×6, first 2 shown]
	v_add_f32_e32 v9, v8, v13
	v_add_f32_e32 v8, v14, v17
	v_fmac_f32_e32 v1, 0x3e9e377a, v15
	v_fmac_f32_e32 v0, 0x3e9e377a, v19
	;; [unrolled: 1-line block ×8, first 2 shown]
	ds_write2_b64 v33, v[8:9], v[0:1] offset0:55 offset1:132
	ds_write2_b64 v12, v[2:3], v[4:5] offset0:81 offset1:158
	ds_write_b64 v33, v[6:7] offset:2904
.LBB0_19:
	s_or_b32 exec_lo, exec_lo, s1
	s_waitcnt lgkmcnt(0)
	s_barrier
	buffer_gl0_inv
	s_and_saveexec_b32 s0, vcc_lo
	s_cbranch_execz .LBB0_21
; %bb.20:
	v_mul_lo_u32 v1, s5, v22
	v_mul_lo_u32 v2, s4, v23
	v_mad_u64_u32 v[6:7], null, s4, v22, 0
	v_add_nc_u32_e32 v13, 55, v32
	v_mad_u64_u32 v[4:5], null, s2, v32, 0
	v_add_nc_u32_e32 v16, 0x6e, v32
	v_add_nc_u32_e32 v17, 0xa5, v32
	v_mad_u64_u32 v[8:9], null, s2, v13, 0
	v_add3_u32 v7, v7, v2, v1
	v_add_nc_u32_e32 v18, 0xdc, v32
	v_mov_b32_e32 v0, v5
	v_lshl_add_u32 v22, v32, 3, 0
	v_add_nc_u32_e32 v19, 0x113, v32
	v_lshlrev_b64 v[6:7], 3, v[6:7]
	v_mov_b32_e32 v5, v9
	v_mad_u64_u32 v[10:11], null, s3, v32, v[0:1]
	v_lshlrev_b64 v[11:12], 3, v[20:21]
	ds_read2_b64 v[0:3], v22 offset1:55
	v_mad_u64_u32 v[13:14], null, s3, v13, v[5:6]
	v_mad_u64_u32 v[14:15], null, s2, v16, 0
	v_add_co_u32 v6, vcc_lo, s10, v6
	v_add_co_ci_u32_e32 v7, vcc_lo, s11, v7, vcc_lo
	v_mov_b32_e32 v9, v13
	v_add_co_u32 v23, vcc_lo, v6, v11
	v_mov_b32_e32 v5, v10
	v_add_co_ci_u32_e32 v24, vcc_lo, v7, v12, vcc_lo
	v_lshlrev_b64 v[7:8], 3, v[8:9]
	v_mov_b32_e32 v6, v15
	v_lshlrev_b64 v[4:5], 3, v[4:5]
	v_mad_u64_u32 v[12:13], null, s2, v18, 0
	v_add_nc_u32_e32 v20, 0x14a, v32
	v_mad_u64_u32 v[9:10], null, s3, v16, v[6:7]
	v_mad_u64_u32 v[10:11], null, s2, v17, 0
	v_add_co_u32 v4, vcc_lo, v23, v4
	v_add_co_ci_u32_e32 v5, vcc_lo, v24, v5, vcc_lo
	v_add_co_u32 v6, vcc_lo, v23, v7
	v_add_co_ci_u32_e32 v7, vcc_lo, v24, v8, vcc_lo
	v_mov_b32_e32 v8, v11
	v_mov_b32_e32 v15, v9
	;; [unrolled: 1-line block ×3, first 2 shown]
	s_waitcnt lgkmcnt(0)
	global_store_dwordx2 v[4:5], v[0:1], off
	global_store_dwordx2 v[6:7], v[2:3], off
	v_add_nc_u32_e32 v7, 0x400, v22
	ds_read2_b64 v[0:3], v22 offset0:110 offset1:165
	v_lshlrev_b64 v[4:5], 3, v[14:15]
	v_mad_u64_u32 v[16:17], null, s3, v17, v[8:9]
	v_mad_u64_u32 v[8:9], null, s3, v18, v[9:10]
	;; [unrolled: 1-line block ×3, first 2 shown]
	v_mov_b32_e32 v11, v16
	v_mov_b32_e32 v13, v8
	v_mad_u64_u32 v[8:9], null, s2, v20, 0
	v_mov_b32_e32 v6, v18
	v_lshlrev_b64 v[10:11], 3, v[10:11]
	v_lshlrev_b64 v[12:13], 3, v[12:13]
	v_mad_u64_u32 v[14:15], null, s3, v19, v[6:7]
	v_mad_u64_u32 v[19:20], null, s3, v20, v[9:10]
	v_add_co_u32 v15, vcc_lo, v23, v4
	v_add_co_ci_u32_e32 v16, vcc_lo, v24, v5, vcc_lo
	ds_read2_b64 v[4:7], v7 offset0:92 offset1:147
	v_mov_b32_e32 v18, v14
	ds_read_b64 v[20:21], v22 offset:2640
	v_mov_b32_e32 v9, v19
	v_add_co_u32 v10, vcc_lo, v23, v10
	v_lshlrev_b64 v[17:18], 3, v[17:18]
	v_add_co_ci_u32_e32 v11, vcc_lo, v24, v11, vcc_lo
	v_add_co_u32 v12, vcc_lo, v23, v12
	v_lshlrev_b64 v[8:9], 3, v[8:9]
	v_add_co_ci_u32_e32 v13, vcc_lo, v24, v13, vcc_lo
	v_add_co_u32 v17, vcc_lo, v23, v17
	v_add_co_ci_u32_e32 v18, vcc_lo, v24, v18, vcc_lo
	v_add_co_u32 v8, vcc_lo, v23, v8
	v_add_co_ci_u32_e32 v9, vcc_lo, v24, v9, vcc_lo
	s_waitcnt lgkmcnt(2)
	global_store_dwordx2 v[15:16], v[0:1], off
	global_store_dwordx2 v[10:11], v[2:3], off
	s_waitcnt lgkmcnt(1)
	global_store_dwordx2 v[12:13], v[4:5], off
	global_store_dwordx2 v[17:18], v[6:7], off
	s_waitcnt lgkmcnt(0)
	global_store_dwordx2 v[8:9], v[20:21], off
.LBB0_21:
	s_endpgm
	.section	.rodata,"a",@progbits
	.p2align	6, 0x0
	.amdhsa_kernel fft_rtc_back_len385_factors_11_7_5_wgs_55_tpt_55_sp_op_CI_CI_sbrr_dirReg
		.amdhsa_group_segment_fixed_size 0
		.amdhsa_private_segment_fixed_size 0
		.amdhsa_kernarg_size 104
		.amdhsa_user_sgpr_count 6
		.amdhsa_user_sgpr_private_segment_buffer 1
		.amdhsa_user_sgpr_dispatch_ptr 0
		.amdhsa_user_sgpr_queue_ptr 0
		.amdhsa_user_sgpr_kernarg_segment_ptr 1
		.amdhsa_user_sgpr_dispatch_id 0
		.amdhsa_user_sgpr_flat_scratch_init 0
		.amdhsa_user_sgpr_private_segment_size 0
		.amdhsa_wavefront_size32 1
		.amdhsa_uses_dynamic_stack 0
		.amdhsa_system_sgpr_private_segment_wavefront_offset 0
		.amdhsa_system_sgpr_workgroup_id_x 1
		.amdhsa_system_sgpr_workgroup_id_y 0
		.amdhsa_system_sgpr_workgroup_id_z 0
		.amdhsa_system_sgpr_workgroup_info 0
		.amdhsa_system_vgpr_workitem_id 0
		.amdhsa_next_free_vgpr 99
		.amdhsa_next_free_sgpr 31
		.amdhsa_reserve_vcc 1
		.amdhsa_reserve_flat_scratch 0
		.amdhsa_float_round_mode_32 0
		.amdhsa_float_round_mode_16_64 0
		.amdhsa_float_denorm_mode_32 3
		.amdhsa_float_denorm_mode_16_64 3
		.amdhsa_dx10_clamp 1
		.amdhsa_ieee_mode 1
		.amdhsa_fp16_overflow 0
		.amdhsa_workgroup_processor_mode 1
		.amdhsa_memory_ordered 1
		.amdhsa_forward_progress 0
		.amdhsa_shared_vgpr_count 0
		.amdhsa_exception_fp_ieee_invalid_op 0
		.amdhsa_exception_fp_denorm_src 0
		.amdhsa_exception_fp_ieee_div_zero 0
		.amdhsa_exception_fp_ieee_overflow 0
		.amdhsa_exception_fp_ieee_underflow 0
		.amdhsa_exception_fp_ieee_inexact 0
		.amdhsa_exception_int_div_zero 0
	.end_amdhsa_kernel
	.text
.Lfunc_end0:
	.size	fft_rtc_back_len385_factors_11_7_5_wgs_55_tpt_55_sp_op_CI_CI_sbrr_dirReg, .Lfunc_end0-fft_rtc_back_len385_factors_11_7_5_wgs_55_tpt_55_sp_op_CI_CI_sbrr_dirReg
                                        ; -- End function
	.section	.AMDGPU.csdata,"",@progbits
; Kernel info:
; codeLenInByte = 6524
; NumSgprs: 33
; NumVgprs: 99
; ScratchSize: 0
; MemoryBound: 0
; FloatMode: 240
; IeeeMode: 1
; LDSByteSize: 0 bytes/workgroup (compile time only)
; SGPRBlocks: 4
; VGPRBlocks: 12
; NumSGPRsForWavesPerEU: 33
; NumVGPRsForWavesPerEU: 99
; Occupancy: 9
; WaveLimiterHint : 1
; COMPUTE_PGM_RSRC2:SCRATCH_EN: 0
; COMPUTE_PGM_RSRC2:USER_SGPR: 6
; COMPUTE_PGM_RSRC2:TRAP_HANDLER: 0
; COMPUTE_PGM_RSRC2:TGID_X_EN: 1
; COMPUTE_PGM_RSRC2:TGID_Y_EN: 0
; COMPUTE_PGM_RSRC2:TGID_Z_EN: 0
; COMPUTE_PGM_RSRC2:TIDIG_COMP_CNT: 0
	.text
	.p2alignl 6, 3214868480
	.fill 48, 4, 3214868480
	.type	__hip_cuid_397a3970307157ac,@object ; @__hip_cuid_397a3970307157ac
	.section	.bss,"aw",@nobits
	.globl	__hip_cuid_397a3970307157ac
__hip_cuid_397a3970307157ac:
	.byte	0                               ; 0x0
	.size	__hip_cuid_397a3970307157ac, 1

	.ident	"AMD clang version 19.0.0git (https://github.com/RadeonOpenCompute/llvm-project roc-6.4.0 25133 c7fe45cf4b819c5991fe208aaa96edf142730f1d)"
	.section	".note.GNU-stack","",@progbits
	.addrsig
	.addrsig_sym __hip_cuid_397a3970307157ac
	.amdgpu_metadata
---
amdhsa.kernels:
  - .args:
      - .actual_access:  read_only
        .address_space:  global
        .offset:         0
        .size:           8
        .value_kind:     global_buffer
      - .offset:         8
        .size:           8
        .value_kind:     by_value
      - .actual_access:  read_only
        .address_space:  global
        .offset:         16
        .size:           8
        .value_kind:     global_buffer
      - .actual_access:  read_only
        .address_space:  global
        .offset:         24
        .size:           8
        .value_kind:     global_buffer
      - .actual_access:  read_only
        .address_space:  global
        .offset:         32
        .size:           8
        .value_kind:     global_buffer
      - .offset:         40
        .size:           8
        .value_kind:     by_value
      - .actual_access:  read_only
        .address_space:  global
        .offset:         48
        .size:           8
        .value_kind:     global_buffer
      - .actual_access:  read_only
        .address_space:  global
        .offset:         56
        .size:           8
        .value_kind:     global_buffer
      - .offset:         64
        .size:           4
        .value_kind:     by_value
      - .actual_access:  read_only
        .address_space:  global
        .offset:         72
        .size:           8
        .value_kind:     global_buffer
      - .actual_access:  read_only
        .address_space:  global
        .offset:         80
        .size:           8
        .value_kind:     global_buffer
      - .actual_access:  read_only
        .address_space:  global
        .offset:         88
        .size:           8
        .value_kind:     global_buffer
      - .actual_access:  write_only
        .address_space:  global
        .offset:         96
        .size:           8
        .value_kind:     global_buffer
    .group_segment_fixed_size: 0
    .kernarg_segment_align: 8
    .kernarg_segment_size: 104
    .language:       OpenCL C
    .language_version:
      - 2
      - 0
    .max_flat_workgroup_size: 55
    .name:           fft_rtc_back_len385_factors_11_7_5_wgs_55_tpt_55_sp_op_CI_CI_sbrr_dirReg
    .private_segment_fixed_size: 0
    .sgpr_count:     33
    .sgpr_spill_count: 0
    .symbol:         fft_rtc_back_len385_factors_11_7_5_wgs_55_tpt_55_sp_op_CI_CI_sbrr_dirReg.kd
    .uniform_work_group_size: 1
    .uses_dynamic_stack: false
    .vgpr_count:     99
    .vgpr_spill_count: 0
    .wavefront_size: 32
    .workgroup_processor_mode: 1
amdhsa.target:   amdgcn-amd-amdhsa--gfx1030
amdhsa.version:
  - 1
  - 2
...

	.end_amdgpu_metadata
